;; amdgpu-corpus repo=triton-lang/triton kind=triton arch=gfx1100 opt=O3 lang=triton
	.amdgcn_target "amdgcn-amd-amdhsa--gfx1100"
	.amdhsa_code_object_version 5
	.text
	.globl	indirect_matmul_kernel          ; -- Begin function indirect_matmul_kernel
	.p2align	8
	.type	indirect_matmul_kernel,@function
indirect_matmul_kernel:                 ; @indirect_matmul_kernel
.Lfunc_begin0:
	.file	1 "/root/src/amdgpu-assembly/repos/triton-lang__triton-aot" "indirect_matmul.py"
	.loc	1 8 0                           ; indirect_matmul.py:8:0
	.cfi_sections .debug_frame
	.cfi_startproc
; %bb.0:
	s_clause 0x1
	s_load_b32 s6, s[0:1], 0x38
	s_load_b64 s[2:3], s[0:1], 0x0
.Ltmp0:
	.loc	1 23 40 prologue_end            ; indirect_matmul.py:23:40
	v_and_b32_e32 v19, 0xc0, v0
	.loc	1 26 35                         ; indirect_matmul.py:26:35
	v_and_b32_e32 v17, 32, v0
	.loc	1 32 25                         ; indirect_matmul.py:32:25
	s_waitcnt lgkmcnt(0)
	s_cmp_lt_i32 s6, 1
	s_cbranch_scc1 .LBB0_4
; %bb.1:                                ; %.lr.ph
	.loc	1 0 25 is_stmt 0                ; indirect_matmul.py:0:25
	s_clause 0x3
	s_load_b64 s[10:11], s[0:1], 0x10
	s_load_b64 s[12:13], s[0:1], 0x20
	s_load_b32 s7, s[0:1], 0x18
	s_load_b32 s8, s[0:1], 0x28
	.loc	1 28 17 is_stmt 1               ; indirect_matmul.py:28:17
	v_dual_mov_b32 v1, 0 :: v_dual_and_b32 v4, 63, v0
	v_lshlrev_b32_e32 v5, 4, v0
	v_lshlrev_b32_e32 v7, 3, v19
	.loc	1 32 25                         ; indirect_matmul.py:32:25
	v_lshrrev_b32_e32 v9, 5, v0
	s_delay_alu instid0(VALU_DEP_4)
	.loc	1 28 17                         ; indirect_matmul.py:28:17
	v_lshlrev_b32_e32 v6, 1, v4
	v_lshlrev_b32_e32 v4, 5, v0
	v_and_b32_e32 v5, 0x70, v5
	.loc	1 23 40                         ; indirect_matmul.py:23:40
	v_and_b32_e32 v2, 0x7f, v0
	s_load_b64 s[4:5], s[0:1], 0x30
	v_mov_b32_e32 v32, v1
	v_mov_b32_e32 v244, v1
	;; [unrolled: 1-line block ×6, first 2 shown]
	.loc	1 28 17                         ; indirect_matmul.py:28:17
	s_waitcnt lgkmcnt(0)
	v_add_co_u32 v10, s9, s10, v6
	s_delay_alu instid0(VALU_DEP_1)
	v_add_co_ci_u32_e64 v6, null, s11, 0, s9
	v_dual_mov_b32 v250, v1 :: v_dual_and_b32 v3, 0x80, v0
	v_mov_b32_e32 v11, v1
	.loc	1 29 17                         ; indirect_matmul.py:29:17
	s_clause 0x1                            ; 8-byte Folded Spill
	scratch_store_b32 off, v6, off offset:32
	scratch_store_b32 off, v0, off offset:48
	v_dual_mov_b32 v29, v1 :: v_dual_and_b32 v6, 0xf00, v4
	v_dual_mov_b32 v31, v1 :: v_dual_and_b32 v4, 0x100, v4
	v_mov_b32_e32 v12, v1
	v_mov_b32_e32 v13, v1
	;; [unrolled: 1-line block ×3, first 2 shown]
	s_delay_alu instid0(VALU_DEP_4) | instskip(SKIP_3) | instid1(VALU_DEP_4)
	v_add3_u32 v4, 0, v7, v4
	v_dual_mov_b32 v30, v1 :: v_dual_and_b32 v7, 4, v9
	v_mov_b32_e32 v9, v1
	v_mov_b32_e32 v15, v1
	v_dual_mov_b32 v4, v1 :: v_dual_add_nc_u32 v255, v4, v5
	v_add3_u32 v6, 0, v6, v5
	v_mov_b32_e32 v28, v1
	v_mov_b32_e32 v5, v1
	;; [unrolled: 1-line block ×4, first 2 shown]
	v_add_nc_u32_e32 v3, v6, v3
	.loc	1 32 25                         ; indirect_matmul.py:32:25
	s_clause 0x1                            ; 8-byte Folded Spill
	scratch_store_b32 off, v7, off offset:36
	scratch_store_b32 off, v17, off offset:56
	v_mov_b32_e32 v6, v1
	v_mov_b32_e32 v27, v1
	scratch_store_b32 off, v3, off offset:44 ; 4-byte Folded Spill
	v_dual_mov_b32 v3, v1 :: v_dual_lshlrev_b32 v2, 1, v2
	v_mov_b32_e32 v26, v1
	v_mov_b32_e32 v243, v1
	;; [unrolled: 1-line block ×3, first 2 shown]
	s_delay_alu instid0(VALU_DEP_4) | instskip(SKIP_4) | instid1(VALU_DEP_4)
	.loc	1 29 17                         ; indirect_matmul.py:29:17
	v_add_co_u32 v171, s9, s12, v2
	v_lshlrev_b32_e32 v2, 1, v0
	v_mov_b32_e32 v0, v10
	.loc	1 32 25                         ; indirect_matmul.py:32:25
	v_lshrrev_b32_e32 v10, 4, v19
	.loc	1 29 17                         ; indirect_matmul.py:29:17
	v_add_co_ci_u32_e64 v172, null, s13, 0, s9
	v_and_b32_e32 v8, 30, v2
	v_add_nc_u32_e32 v178, 0, v2
	s_delay_alu instid0(VALU_DEP_4)
	.loc	1 32 25                         ; indirect_matmul.py:32:25
	v_and_b32_e32 v7, 12, v10
	scratch_store_b32 off, v19, off offset:52 ; 4-byte Folded Spill
	v_mov_b32_e32 v2, v1
	v_add3_u32 v173, 0, v17, v8
	v_mov_b32_e32 v8, v1
	scratch_store_b32 off, v7, off offset:40 ; 4-byte Folded Spill
	v_mov_b32_e32 v7, v1
	v_mov_b32_e32 v10, v1
	s_mov_b32 s9, 0
.LBB0_2:                                ; =>This Inner Loop Header: Depth=1
	.loc	1 33 22                         ; indirect_matmul.py:33:22
	scratch_load_b32 v17, off, off offset:40 ; 4-byte Folded Reload
	s_clause 0x1                            ; 32-byte Folded Spill
	scratch_store_b128 off, v[243:246], off
	scratch_store_b128 off, v[247:250], off offset:16
	.loc	1 32 25                         ; indirect_matmul.py:32:25
	s_addk_i32 s9, 0x80
	.loc	1 33 22                         ; indirect_matmul.py:33:22
	s_waitcnt vmcnt(0)
	v_add_co_u32 v66, s10, s4, v17
	scratch_load_b32 v17, off, off offset:36 ; 4-byte Folded Reload
	v_add_co_ci_u32_e64 v67, null, s5, 0, s10
	s_waitcnt vmcnt(0)
	v_add_co_u32 v33, s10, s4, v17
	s_delay_alu instid0(VALU_DEP_1)
	v_add_co_ci_u32_e64 v34, null, s5, 0, s10
	s_clause 0x1f
	global_load_b32 v35, v[66:67], off
	global_load_b32 v36, v[66:67], off offset:16
	global_load_b32 v37, v[66:67], off offset:32
	;; [unrolled: 1-line block ×31, first 2 shown]
	s_clause 0x1f
	global_load_b32 v67, v[33:34], off
	global_load_b32 v68, v[33:34], off offset:8
	global_load_b32 v69, v[33:34], off offset:16
	;; [unrolled: 1-line block ×31, first 2 shown]
	s_clause 0x1f
	global_load_b32 v99, v[33:34], off offset:256
	global_load_b32 v100, v[33:34], off offset:264
	;; [unrolled: 1-line block ×32, first 2 shown]
	.loc	1 32 25                         ; indirect_matmul.py:32:25
	s_add_u32 s4, s4, 0x200
	s_addc_u32 s5, s5, 0
	s_cmp_lt_i32 s9, s6
	.loc	1 35 44                         ; indirect_matmul.py:35:44
	s_waitcnt vmcnt(62)
	v_mul_lo_u32 v33, v35, s7
	v_mul_lo_u32 v35, v36, s7
	;; [unrolled: 1-line block ×9, first 2 shown]
	.loc	1 35 29 is_stmt 0               ; indirect_matmul.py:35:29
	v_ashrrev_i32_e32 v36, 31, v35
	v_ashrrev_i32_e32 v38, 31, v37
	.loc	1 35 44                         ; indirect_matmul.py:35:44
	v_mul_lo_u32 v121, v44, s7
	.loc	1 35 29                         ; indirect_matmul.py:35:29
	v_ashrrev_i32_e32 v40, 31, v39
	.loc	1 35 44                         ; indirect_matmul.py:35:44
	v_mul_lo_u32 v45, v45, s7
	.loc	1 35 29                         ; indirect_matmul.py:35:29
	v_lshlrev_b64 v[35:36], 1, v[35:36]
	v_lshlrev_b64 v[37:38], 1, v[37:38]
	.loc	1 35 44                         ; indirect_matmul.py:35:44
	v_mul_lo_u32 v51, v51, s7
	v_mul_lo_u32 v129, v52, s7
	;; [unrolled: 1-line block ×3, first 2 shown]
	.loc	1 35 29                         ; indirect_matmul.py:35:29
	v_ashrrev_i32_e32 v42, 31, v41
	.loc	1 35 44                         ; indirect_matmul.py:35:44
	v_mul_lo_u32 v55, v55, s7
	.loc	1 35 29                         ; indirect_matmul.py:35:29
	v_lshlrev_b64 v[237:238], 1, v[39:40]
	.loc	1 35 44                         ; indirect_matmul.py:35:44
	v_mul_lo_u32 v57, v57, s7
	v_mul_lo_u32 v123, v46, s7
	;; [unrolled: 1-line block ×3, first 2 shown]
	.loc	1 35 29                         ; indirect_matmul.py:35:29
	v_ashrrev_i32_e32 v52, 31, v51
	.loc	1 35 44                         ; indirect_matmul.py:35:44
	v_mul_lo_u32 v131, v54, s7
	v_mul_lo_u32 v61, v61, s7
	.loc	1 35 29                         ; indirect_matmul.py:35:29
	v_ashrrev_i32_e32 v54, 31, v53
	.loc	1 35 44                         ; indirect_matmul.py:35:44
	v_mul_lo_u32 v47, v47, s7
	v_mul_lo_u32 v133, v56, s7
	v_mul_lo_u32 v63, v63, s7
	.loc	1 35 29                         ; indirect_matmul.py:35:29
	v_ashrrev_i32_e32 v44, 31, v43
	v_ashrrev_i32_e32 v56, 31, v55
	v_lshlrev_b64 v[239:240], 1, v[41:42]
	v_lshlrev_b64 v[249:250], 1, v[51:52]
	.loc	1 35 44                         ; indirect_matmul.py:35:44
	v_mul_lo_u32 v125, v48, s7
	v_mul_lo_u32 v135, v58, s7
	.loc	1 36 44 is_stmt 1               ; indirect_matmul.py:36:44
	s_waitcnt vmcnt(57)
	v_mul_lo_u32 v73, v73, s8
	s_waitcnt vmcnt(56)
	v_mul_lo_u32 v151, v74, s8
	;; [unrolled: 2-line block ×7, first 2 shown]
	.loc	1 35 44                         ; indirect_matmul.py:35:44
	v_mul_lo_u32 v65, v65, s7
	.loc	1 36 44                         ; indirect_matmul.py:36:44
	s_waitcnt vmcnt(49)
	v_mul_lo_u32 v81, v81, s8
	.loc	1 36 29 is_stmt 0               ; indirect_matmul.py:36:29
	v_ashrrev_i32_e32 v74, 31, v73
	.loc	1 36 44                         ; indirect_matmul.py:36:44
	s_waitcnt vmcnt(47)
	v_mul_lo_u32 v83, v83, s8
	.loc	1 36 29                         ; indirect_matmul.py:36:29
	v_ashrrev_i32_e32 v76, 31, v75
	.loc	1 36 44                         ; indirect_matmul.py:36:44
	s_waitcnt vmcnt(45)
	v_mul_lo_u32 v85, v85, s8
	.loc	1 36 29                         ; indirect_matmul.py:36:29
	v_ashrrev_i32_e32 v78, 31, v77
	v_lshlrev_b64 v[51:52], 1, v[73:74]
	.loc	1 36 44                         ; indirect_matmul.py:36:44
	v_mul_lo_u32 v157, v80, s8
	s_waitcnt vmcnt(43)
	v_mul_lo_u32 v87, v87, s8
	.loc	1 35 29 is_stmt 1               ; indirect_matmul.py:35:29
	v_ashrrev_i32_e32 v58, 31, v57
	.loc	1 36 29                         ; indirect_matmul.py:36:29
	v_ashrrev_i32_e32 v80, 31, v79
	.loc	1 35 29                         ; indirect_matmul.py:35:29
	v_lshlrev_b64 v[251:252], 1, v[53:54]
	.loc	1 36 29                         ; indirect_matmul.py:36:29
	v_lshlrev_b64 v[53:54], 1, v[75:76]
	.loc	1 35 44                         ; indirect_matmul.py:35:44
	v_mul_lo_u32 v49, v49, s7
	.loc	1 36 44                         ; indirect_matmul.py:36:44
	s_waitcnt vmcnt(35)
	v_mul_lo_u32 v95, v95, s8
	s_waitcnt vmcnt(34)
	v_mul_lo_u32 v185, v96, s8
	;; [unrolled: 2-line block ×9, first 2 shown]
	.loc	1 36 29 is_stmt 0               ; indirect_matmul.py:36:29
	v_ashrrev_i32_e32 v96, 31, v95
	.loc	1 36 44                         ; indirect_matmul.py:36:44
	s_waitcnt vmcnt(25)
	v_mul_lo_u32 v105, v105, s8
	.loc	1 36 29                         ; indirect_matmul.py:36:29
	v_ashrrev_i32_e32 v98, 31, v97
	.loc	1 36 44                         ; indirect_matmul.py:36:44
	s_waitcnt vmcnt(23)
	v_mul_lo_u32 v107, v107, s8
	.loc	1 36 29                         ; indirect_matmul.py:36:29
	v_ashrrev_i32_e32 v100, 31, v99
	v_lshlrev_b64 v[73:74], 1, v[95:96]
	.loc	1 36 44                         ; indirect_matmul.py:36:44
	s_waitcnt vmcnt(21)
	v_mul_lo_u32 v109, v109, s8
	.loc	1 36 29                         ; indirect_matmul.py:36:29
	v_ashrrev_i32_e32 v102, 31, v101
	v_lshlrev_b64 v[75:76], 1, v[97:98]
	.loc	1 35 44 is_stmt 1               ; indirect_matmul.py:35:44
	v_mul_lo_u32 v137, v60, s7
	.loc	1 36 44                         ; indirect_matmul.py:36:44
	v_mul_lo_u32 v67, v67, s8
	v_mul_lo_u32 v159, v82, s8
	s_waitcnt vmcnt(14)
	v_mul_lo_u32 v207, v18, s8
	s_waitcnt vmcnt(13)
	;; [unrolled: 2-line block ×6, first 2 shown]
	v_mul_lo_u32 v217, v23, s8
	scratch_load_b32 v23, off, off offset:32 ; 4-byte Folded Reload
	s_waitcnt vmcnt(8)
	v_mul_lo_u32 v221, v116, s8
	.loc	1 35 29                         ; indirect_matmul.py:35:29
	v_ashrrev_i32_e32 v116, 31, v115
	.loc	1 36 44                         ; indirect_matmul.py:36:44
	s_waitcnt vmcnt(7)
	v_mul_lo_u32 v223, v118, s8
	.loc	1 35 29                         ; indirect_matmul.py:35:29
	v_ashrrev_i32_e32 v118, 31, v117
	.loc	1 36 29                         ; indirect_matmul.py:36:29
	v_ashrrev_i32_e32 v208, 31, v207
	.loc	1 36 44 is_stmt 0               ; indirect_matmul.py:36:44
	s_waitcnt vmcnt(6)
	v_mul_lo_u32 v225, v120, s8
	.loc	1 35 29 is_stmt 1               ; indirect_matmul.py:35:29
	v_lshlrev_b64 v[115:116], 1, v[115:116]
	.loc	1 36 44                         ; indirect_matmul.py:36:44
	s_waitcnt vmcnt(1)
	v_mul_lo_u32 v235, v34, s8
	.loc	1 35 29                         ; indirect_matmul.py:35:29
	v_ashrrev_i32_e32 v34, 31, v33
	v_ashrrev_i32_e32 v120, 31, v119
	.loc	1 36 29                         ; indirect_matmul.py:36:29
	v_ashrrev_i32_e32 v210, 31, v209
	.loc	1 35 29                         ; indirect_matmul.py:35:29
	v_lshlrev_b64 v[117:118], 1, v[117:118]
	.loc	1 36 44                         ; indirect_matmul.py:36:44
	v_mul_lo_u32 v219, v24, s8
	.loc	1 35 29                         ; indirect_matmul.py:35:29
	v_lshlrev_b64 v[33:34], 1, v[33:34]
	.loc	1 36 29                         ; indirect_matmul.py:36:29
	v_ashrrev_i32_e32 v212, 31, v211
	v_lshlrev_b64 v[95:96], 1, v[207:208]
	.loc	1 36 44 is_stmt 0               ; indirect_matmul.py:36:44
	v_mul_lo_u32 v227, v122, s8
	.loc	1 35 29 is_stmt 1               ; indirect_matmul.py:35:29
	v_ashrrev_i32_e32 v122, 31, v121
	.loc	1 36 29                         ; indirect_matmul.py:36:29
	v_ashrrev_i32_e32 v214, 31, v213
	.loc	1 35 29                         ; indirect_matmul.py:35:29
	v_add_co_u32 v33, vcc_lo, v0, v33
	v_lshlrev_b64 v[119:120], 1, v[119:120]
	.loc	1 36 29                         ; indirect_matmul.py:36:29
	v_lshlrev_b64 v[97:98], 1, v[209:210]
	.loc	1 36 44 is_stmt 0               ; indirect_matmul.py:36:44
	v_mul_lo_u32 v89, v89, s8
	v_mul_lo_u32 v193, v104, s8
	;; [unrolled: 1-line block ×3, first 2 shown]
	.loc	1 35 29 is_stmt 1               ; indirect_matmul.py:35:29
	v_ashrrev_i32_e32 v46, 31, v45
	v_ashrrev_i32_e32 v60, 31, v59
	.loc	1 36 29                         ; indirect_matmul.py:36:29
	v_ashrrev_i32_e32 v82, 31, v81
	v_ashrrev_i32_e32 v104, 31, v103
	;; [unrolled: 1-line block ×3, first 2 shown]
	.loc	1 35 29                         ; indirect_matmul.py:35:29
	v_lshlrev_b64 v[241:242], 1, v[43:44]
	v_lshlrev_b64 v[253:254], 1, v[55:56]
	.loc	1 36 29                         ; indirect_matmul.py:36:29
	v_lshlrev_b64 v[55:56], 1, v[77:78]
	v_lshlrev_b64 v[77:78], 1, v[99:100]
	;; [unrolled: 1-line block ×3, first 2 shown]
	.loc	1 35 44                         ; indirect_matmul.py:35:44
	v_mul_lo_u32 v127, v50, s7
	v_mul_lo_u32 v139, v62, s7
	.loc	1 36 44                         ; indirect_matmul.py:36:44
	v_mul_lo_u32 v69, v69, s8
	v_mul_lo_u32 v161, v84, s8
	;; [unrolled: 1-line block ×6, first 2 shown]
	.loc	1 35 29                         ; indirect_matmul.py:35:29
	v_ashrrev_i32_e32 v124, 31, v123
	v_ashrrev_i32_e32 v62, 31, v61
	.loc	1 36 29                         ; indirect_matmul.py:36:29
	v_ashrrev_i32_e32 v84, 31, v83
	v_ashrrev_i32_e32 v106, 31, v105
	;; [unrolled: 1-line block ×3, first 2 shown]
	.loc	1 35 29                         ; indirect_matmul.py:35:29
	v_lshlrev_b64 v[121:122], 1, v[121:122]
	v_lshlrev_b64 v[167:168], 1, v[57:58]
	.loc	1 36 29                         ; indirect_matmul.py:36:29
	v_lshlrev_b64 v[57:58], 1, v[79:80]
	v_lshlrev_b64 v[79:80], 1, v[101:102]
	;; [unrolled: 1-line block ×3, first 2 shown]
	.loc	1 35 44                         ; indirect_matmul.py:35:44
	v_mul_lo_u32 v141, v64, s7
	.loc	1 36 44                         ; indirect_matmul.py:36:44
	v_mul_lo_u32 v163, v86, s8
	v_mul_lo_u32 v197, v108, s8
	.loc	1 35 29                         ; indirect_matmul.py:35:29
	v_ashrrev_i32_e32 v48, 31, v47
	v_ashrrev_i32_e32 v64, 31, v63
	.loc	1 36 29                         ; indirect_matmul.py:36:29
	v_ashrrev_i32_e32 v86, 31, v85
	v_ashrrev_i32_e32 v108, 31, v107
	;; [unrolled: 1-line block ×3, first 2 shown]
	.loc	1 35 29                         ; indirect_matmul.py:35:29
	v_lshlrev_b64 v[243:244], 1, v[45:46]
	v_lshlrev_b64 v[174:175], 1, v[59:60]
	.loc	1 36 29                         ; indirect_matmul.py:36:29
	v_lshlrev_b64 v[59:60], 1, v[81:82]
	v_lshlrev_b64 v[81:82], 1, v[103:104]
	v_lshlrev_b64 v[103:104], 1, v[215:216]
	.loc	1 35 44                         ; indirect_matmul.py:35:44
	v_mul_lo_u32 v143, v66, s7
	.loc	1 36 44                         ; indirect_matmul.py:36:44
	v_mul_lo_u32 v165, v88, s8
	v_mul_lo_u32 v199, v110, s8
	;; [unrolled: 1-line block ×3, first 2 shown]
	.loc	1 35 29                         ; indirect_matmul.py:35:29
	v_ashrrev_i32_e32 v126, 31, v125
	v_ashrrev_i32_e32 v66, 31, v65
	.loc	1 36 29                         ; indirect_matmul.py:36:29
	v_ashrrev_i32_e32 v88, 31, v87
	v_ashrrev_i32_e32 v110, 31, v109
	v_ashrrev_i32_e32 v222, 31, v221
	.loc	1 35 29                         ; indirect_matmul.py:35:29
	v_lshlrev_b64 v[123:124], 1, v[123:124]
	v_lshlrev_b64 v[39:40], 1, v[61:62]
	.loc	1 36 29                         ; indirect_matmul.py:36:29
	v_lshlrev_b64 v[61:62], 1, v[83:84]
	v_lshlrev_b64 v[83:84], 1, v[105:106]
	;; [unrolled: 1-line block ×3, first 2 shown]
	.loc	1 36 44 is_stmt 0               ; indirect_matmul.py:36:44
	v_mul_lo_u32 v145, v68, s8
	v_mul_lo_u32 v179, v90, s8
	;; [unrolled: 1-line block ×3, first 2 shown]
	.loc	1 35 29 is_stmt 1               ; indirect_matmul.py:35:29
	v_ashrrev_i32_e32 v50, 31, v49
	.loc	1 36 29                         ; indirect_matmul.py:36:29
	v_ashrrev_i32_e32 v68, 31, v67
	v_ashrrev_i32_e32 v90, 31, v89
	;; [unrolled: 1-line block ×4, first 2 shown]
	.loc	1 35 29                         ; indirect_matmul.py:35:29
	v_lshlrev_b64 v[245:246], 1, v[47:48]
	v_lshlrev_b64 v[41:42], 1, v[63:64]
	.loc	1 36 29                         ; indirect_matmul.py:36:29
	v_lshlrev_b64 v[63:64], 1, v[85:86]
	v_lshlrev_b64 v[85:86], 1, v[107:108]
	;; [unrolled: 1-line block ×3, first 2 shown]
	.loc	1 36 44 is_stmt 0               ; indirect_matmul.py:36:44
	v_mul_lo_u32 v147, v70, s8
	v_mul_lo_u32 v181, v92, s8
	;; [unrolled: 1-line block ×4, first 2 shown]
	.loc	1 35 29 is_stmt 1               ; indirect_matmul.py:35:29
	v_ashrrev_i32_e32 v128, 31, v127
	.loc	1 36 29                         ; indirect_matmul.py:36:29
	v_ashrrev_i32_e32 v70, 31, v69
	v_ashrrev_i32_e32 v92, 31, v91
	;; [unrolled: 1-line block ×4, first 2 shown]
	.loc	1 35 29                         ; indirect_matmul.py:35:29
	v_lshlrev_b64 v[125:126], 1, v[125:126]
	v_lshlrev_b64 v[43:44], 1, v[65:66]
	.loc	1 36 29                         ; indirect_matmul.py:36:29
	v_lshlrev_b64 v[65:66], 1, v[87:88]
	v_lshlrev_b64 v[87:88], 1, v[109:110]
	;; [unrolled: 1-line block ×3, first 2 shown]
	v_ashrrev_i32_e32 v228, 31, v227
	.loc	1 35 29                         ; indirect_matmul.py:35:29
	v_lshlrev_b64 v[247:248], 1, v[49:50]
	.loc	1 36 29                         ; indirect_matmul.py:36:29
	v_lshlrev_b64 v[45:46], 1, v[67:68]
	v_lshlrev_b64 v[67:68], 1, v[89:90]
	;; [unrolled: 1-line block ×4, first 2 shown]
	.loc	1 35 29                         ; indirect_matmul.py:35:29
	v_ashrrev_i32_e32 v130, 31, v129
	.loc	1 36 29                         ; indirect_matmul.py:36:29
	v_ashrrev_i32_e32 v230, 31, v229
	.loc	1 35 29                         ; indirect_matmul.py:35:29
	v_lshlrev_b64 v[127:128], 1, v[127:128]
	.loc	1 36 29                         ; indirect_matmul.py:36:29
	v_lshlrev_b64 v[47:48], 1, v[69:70]
	v_lshlrev_b64 v[69:70], 1, v[91:92]
	v_lshlrev_b64 v[91:92], 1, v[113:114]
	v_lshlrev_b64 v[113:114], 1, v[225:226]
	v_ashrrev_i32_e32 v232, 31, v231
	v_lshlrev_b64 v[169:170], 1, v[227:228]
	.loc	1 35 29                         ; indirect_matmul.py:35:29
	v_ashrrev_i32_e32 v132, 31, v131
	.loc	1 36 29                         ; indirect_matmul.py:36:29
	v_ashrrev_i32_e32 v234, 31, v233
	.loc	1 35 29                         ; indirect_matmul.py:35:29
	v_lshlrev_b64 v[129:130], 1, v[129:130]
	.loc	1 36 29                         ; indirect_matmul.py:36:29
	v_lshlrev_b64 v[176:177], 1, v[229:230]
	v_ashrrev_i32_e32 v236, 31, v235
	.loc	1 36 44 is_stmt 0               ; indirect_matmul.py:36:44
	v_mul_lo_u32 v205, v17, s8
	.loc	1 36 29                         ; indirect_matmul.py:36:29
	v_lshlrev_b64 v[17:18], 1, v[231:232]
	.loc	1 35 29 is_stmt 1               ; indirect_matmul.py:35:29
	v_ashrrev_i32_e32 v134, 31, v133
	v_lshlrev_b64 v[131:132], 1, v[131:132]
	.loc	1 36 29                         ; indirect_matmul.py:36:29
	v_lshlrev_b64 v[19:20], 1, v[233:234]
	v_lshlrev_b64 v[21:22], 1, v[235:236]
	.loc	1 35 29                         ; indirect_matmul.py:35:29
	v_ashrrev_i32_e32 v136, 31, v135
	v_lshlrev_b64 v[133:134], 1, v[133:134]
	v_ashrrev_i32_e32 v138, 31, v137
	v_ashrrev_i32_e32 v140, 31, v139
	.loc	1 36 44                         ; indirect_matmul.py:36:44
	v_mul_lo_u32 v71, v71, s8
	.loc	1 35 29                         ; indirect_matmul.py:35:29
	v_lshlrev_b64 v[135:136], 1, v[135:136]
	.loc	1 36 44                         ; indirect_matmul.py:36:44
	v_mul_lo_u32 v93, v93, s8
	.loc	1 35 29                         ; indirect_matmul.py:35:29
	v_lshlrev_b64 v[137:138], 1, v[137:138]
	v_ashrrev_i32_e32 v142, 31, v141
	v_lshlrev_b64 v[139:140], 1, v[139:140]
	v_ashrrev_i32_e32 v144, 31, v143
	.loc	1 36 44                         ; indirect_matmul.py:36:44
	v_mul_lo_u32 v149, v72, s8
	v_mul_lo_u32 v183, v94, s8
	.loc	1 35 29                         ; indirect_matmul.py:35:29
	v_lshlrev_b64 v[141:142], 1, v[141:142]
	.loc	1 36 29                         ; indirect_matmul.py:36:29
	v_ashrrev_i32_e32 v146, 31, v145
	v_ashrrev_i32_e32 v72, 31, v71
	;; [unrolled: 1-line block ×3, first 2 shown]
	.loc	1 35 29                         ; indirect_matmul.py:35:29
	v_lshlrev_b64 v[143:144], 1, v[143:144]
	.loc	1 36 29                         ; indirect_matmul.py:36:29
	v_ashrrev_i32_e32 v148, 31, v147
	v_lshlrev_b64 v[145:146], 1, v[145:146]
	v_lshlrev_b64 v[49:50], 1, v[71:72]
	v_lshlrev_b64 v[71:72], 1, v[93:94]
	v_ashrrev_i32_e32 v150, 31, v149
	v_lshlrev_b64 v[147:148], 1, v[147:148]
	v_ashrrev_i32_e32 v152, 31, v151
	v_ashrrev_i32_e32 v154, 31, v153
	v_ashrrev_i32_e32 v156, 31, v155
	v_lshlrev_b64 v[149:150], 1, v[149:150]
	v_ashrrev_i32_e32 v158, 31, v157
	v_lshlrev_b64 v[151:152], 1, v[151:152]
	v_lshlrev_b64 v[153:154], 1, v[153:154]
	v_lshlrev_b64 v[155:156], 1, v[155:156]
	v_ashrrev_i32_e32 v160, 31, v159
	v_lshlrev_b64 v[157:158], 1, v[157:158]
	v_ashrrev_i32_e32 v162, 31, v161
	v_ashrrev_i32_e32 v164, 31, v163
	v_ashrrev_i32_e32 v166, 31, v165
	v_lshlrev_b64 v[159:160], 1, v[159:160]
	v_ashrrev_i32_e32 v180, 31, v179
	v_lshlrev_b64 v[161:162], 1, v[161:162]
	v_lshlrev_b64 v[163:164], 1, v[163:164]
	v_lshlrev_b64 v[165:166], 1, v[165:166]
	v_ashrrev_i32_e32 v182, 31, v181
	v_lshlrev_b64 v[179:180], 1, v[179:180]
	v_ashrrev_i32_e32 v184, 31, v183
	v_ashrrev_i32_e32 v186, 31, v185
	v_ashrrev_i32_e32 v188, 31, v187
	v_lshlrev_b64 v[181:182], 1, v[181:182]
	v_ashrrev_i32_e32 v190, 31, v189
	v_lshlrev_b64 v[183:184], 1, v[183:184]
	v_lshlrev_b64 v[185:186], 1, v[185:186]
	v_lshlrev_b64 v[187:188], 1, v[187:188]
	v_ashrrev_i32_e32 v192, 31, v191
	v_lshlrev_b64 v[189:190], 1, v[189:190]
	v_ashrrev_i32_e32 v194, 31, v193
	v_ashrrev_i32_e32 v196, 31, v195
	v_ashrrev_i32_e32 v198, 31, v197
	v_lshlrev_b64 v[191:192], 1, v[191:192]
	v_ashrrev_i32_e32 v200, 31, v199
	v_lshlrev_b64 v[193:194], 1, v[193:194]
	v_lshlrev_b64 v[195:196], 1, v[195:196]
	;; [unrolled: 1-line block ×3, first 2 shown]
	v_ashrrev_i32_e32 v202, 31, v201
	v_lshlrev_b64 v[199:200], 1, v[199:200]
	v_ashrrev_i32_e32 v204, 31, v203
	v_ashrrev_i32_e32 v206, 31, v205
	s_delay_alu instid0(VALU_DEP_4) | instskip(NEXT) | instid1(VALU_DEP_3)
	v_lshlrev_b64 v[201:202], 1, v[201:202]
	v_lshlrev_b64 v[203:204], 1, v[203:204]
	s_delay_alu instid0(VALU_DEP_3) | instskip(SKIP_3) | instid1(VALU_DEP_1)
	v_lshlrev_b64 v[205:206], 1, v[205:206]
	.loc	1 35 29                         ; indirect_matmul.py:35:29
	s_waitcnt vmcnt(0)
	v_add_co_ci_u32_e64 v34, null, v23, v34, vcc_lo
	v_add_co_u32 v35, vcc_lo, v0, v35
	v_add_co_ci_u32_e64 v36, null, v23, v36, vcc_lo
	v_add_co_u32 v37, vcc_lo, v0, v37
	s_delay_alu instid0(VALU_DEP_1) | instskip(SKIP_1) | instid1(VALU_DEP_1)
	v_add_co_ci_u32_e64 v38, null, v23, v38, vcc_lo
	v_add_co_u32 v208, vcc_lo, v0, v115
	v_add_co_ci_u32_e64 v209, null, v23, v116, vcc_lo
	v_add_co_u32 v210, vcc_lo, v0, v237
	s_delay_alu instid0(VALU_DEP_1) | instskip(SKIP_1) | instid1(VALU_DEP_1)
	;; [unrolled: 5-line block ×15, first 2 shown]
	v_add_co_ci_u32_e64 v94, null, v23, v44, vcc_lo
	v_add_co_u32 v43, vcc_lo, v0, v143
	v_add_co_ci_u32_e64 v44, null, v23, v144, vcc_lo
	.loc	1 36 29                         ; indirect_matmul.py:36:29
	v_add_co_u32 v23, vcc_lo, v171, v45
	s_delay_alu instid0(VALU_DEP_1) | instskip(SKIP_1) | instid1(VALU_DEP_1)
	v_add_co_ci_u32_e64 v24, null, v172, v46, vcc_lo
	v_add_co_u32 v45, vcc_lo, v171, v145
	v_add_co_ci_u32_e64 v46, null, v172, v146, vcc_lo
	v_add_co_u32 v115, vcc_lo, v171, v47
	s_delay_alu instid0(VALU_DEP_1) | instskip(SKIP_1) | instid1(VALU_DEP_1)
	v_add_co_ci_u32_e64 v116, null, v172, v48, vcc_lo
	v_add_co_u32 v47, vcc_lo, v171, v147
	v_add_co_ci_u32_e64 v48, null, v172, v148, vcc_lo
	;; [unrolled: 5-line block ×32, first 2 shown]
	.loc	1 36 20 is_stmt 0               ; indirect_matmul.py:36:20
	s_clause 0x1f
	global_load_u16 v17, v[117:118], off
	global_load_u16 v18, v[119:120], off
	;; [unrolled: 1-line block ×32, first 2 shown]
	s_clause 0x1f
	global_load_u16 v116, v[75:76], off
	global_load_u16 v53, v[53:54], off
	;; [unrolled: 1-line block ×32, first 2 shown]
	.loc	1 35 20 is_stmt 1               ; indirect_matmul.py:35:20
	s_clause 0x1b
	global_load_u16 v97, v[33:34], off
	global_load_u16 v98, v[35:36], off
	;; [unrolled: 1-line block ×28, first 2 shown]
	s_clause 0x1                            ; 32-byte Folded Reload
	scratch_load_b128 v[243:246], off, off
	scratch_load_b128 v[247:250], off, off offset:16
	s_clause 0x3
	global_load_u16 v73, v[41:42], off
	global_load_u16 v74, v[252:253], off
	global_load_u16 v75, v[93:94], off
	global_load_u16 v76, v[43:44], off
	.loc	1 38 21                         ; indirect_matmul.py:38:21
	s_waitcnt vmcnt(62)
	v_perm_b32 v36, v20, v18, 0x5040100
	v_perm_b32 v35, v19, v17, 0x5040100
	;; [unrolled: 1-line block ×8, first 2 shown]
	s_waitcnt vmcnt(0)
	s_waitcnt_vscnt null, 0x0
	s_barrier
	buffer_gl0_inv
	scratch_load_b32 v17, off, off offset:44 ; 4-byte Folded Reload
	s_waitcnt vmcnt(0)
	ds_store_b128 v17, v[33:36]
	s_waitcnt lgkmcnt(0)
	s_barrier
	buffer_gl0_inv
	ds_load_b128 v[33:36], v255
	ds_load_b128 v[37:40], v255 offset:128
	ds_load_b128 v[41:44], v255 offset:2048
	;; [unrolled: 1-line block ×3, first 2 shown]
	s_waitcnt lgkmcnt(0)
	s_barrier
	buffer_gl0_inv
	ds_store_b128 v17, v[49:52]
	s_waitcnt lgkmcnt(0)
	s_barrier
	buffer_gl0_inv
	ds_load_b128 v[93:96], v255
	ds_load_b128 v[117:120], v255 offset:128
	ds_load_b128 v[125:128], v255 offset:2048
	;; [unrolled: 1-line block ×3, first 2 shown]
	v_perm_b32 v52, v198, v196, 0x5040100
	v_perm_b32 v51, v194, v192, 0x5040100
	;; [unrolled: 1-line block ×4, first 2 shown]
	.loc	1 38 26 is_stmt 0               ; indirect_matmul.py:38:26
	s_waitcnt lgkmcnt(2)
	v_perm_b32 v114, v119, v95, 0x7060302
	.loc	1 38 21                         ; indirect_matmul.py:38:21
	s_waitcnt lgkmcnt(0)
	s_barrier
	buffer_gl0_inv
	ds_store_b128 v17, v[49:52]
	s_waitcnt lgkmcnt(0)
	s_barrier
	buffer_gl0_inv
	ds_load_b128 v[133:136], v255
	ds_load_b128 v[137:140], v255 offset:128
	ds_load_b128 v[141:144], v255 offset:2048
	;; [unrolled: 1-line block ×3, first 2 shown]
	v_perm_b32 v52, v115, v24, 0x5040100
	v_perm_b32 v51, v23, v187, 0x5040100
	;; [unrolled: 1-line block ×4, first 2 shown]
	.loc	1 38 26                         ; indirect_matmul.py:38:26
	v_perm_b32 v115, v120, v96, 0x5040100
	.loc	1 38 21                         ; indirect_matmul.py:38:21
	s_waitcnt lgkmcnt(0)
	s_barrier
	buffer_gl0_inv
	ds_store_b128 v17, v[49:52]
	s_waitcnt lgkmcnt(0)
	s_barrier
	buffer_gl0_inv
	ds_load_b128 v[149:152], v255
	ds_load_b128 v[153:156], v255 offset:128
	ds_load_b128 v[157:160], v255 offset:2048
	;; [unrolled: 1-line block ×3, first 2 shown]
	v_perm_b32 v52, v123, v122, 0x5040100
	v_perm_b32 v51, v121, v56, 0x5040100
	;; [unrolled: 1-line block ×4, first 2 shown]
	.loc	1 38 26                         ; indirect_matmul.py:38:26
	v_perm_b32 v116, v120, v96, 0x7060302
	v_perm_b32 v122, v131, v127, 0x7060302
	;; [unrolled: 1-line block ×5, first 2 shown]
	s_waitcnt lgkmcnt(2)
	v_perm_b32 v131, v156, v152, 0x5040100
	v_perm_b32 v127, v154, v150, 0x5040100
	.loc	1 38 21                         ; indirect_matmul.py:38:21
	s_waitcnt lgkmcnt(0)
	s_barrier
	buffer_gl0_inv
	ds_store_b128 v17, v[49:52]
	s_waitcnt lgkmcnt(0)
	s_barrier
	buffer_gl0_inv
	ds_load_b128 v[179:182], v255
	ds_load_b128 v[183:186], v255 offset:128
	ds_load_b128 v[187:190], v255 offset:2048
	;; [unrolled: 1-line block ×3, first 2 shown]
	v_perm_b32 v52, v83, v82, 0x5040100
	v_perm_b32 v51, v81, v80, 0x5040100
	v_perm_b32 v50, v79, v78, 0x5040100
	v_perm_b32 v49, v77, v124, 0x5040100
	.loc	1 38 26                         ; indirect_matmul.py:38:26
	v_perm_b32 v82, v39, v35, 0x7060302
	v_perm_b32 v80, v38, v34, 0x7060302
	;; [unrolled: 1-line block ×20, first 2 shown]
	s_waitcnt lgkmcnt(0)
	v_perm_b32 v156, v194, v190, 0x7060302
	v_perm_b32 v154, v193, v189, 0x7060302
	;; [unrolled: 1-line block ×4, first 2 shown]
	.loc	1 38 21                         ; indirect_matmul.py:38:21
	s_barrier
	buffer_gl0_inv
	ds_store_b128 v17, v[49:52]
	s_waitcnt lgkmcnt(0)
	s_barrier
	buffer_gl0_inv
	ds_load_b128 v[195:198], v255
	ds_load_b128 v[199:202], v255 offset:128
	ds_load_b128 v[203:206], v255 offset:2048
	;; [unrolled: 1-line block ×3, first 2 shown]
	v_perm_b32 v52, v91, v90, 0x5040100
	v_perm_b32 v51, v89, v88, 0x5040100
	;; [unrolled: 1-line block ×4, first 2 shown]
	.loc	1 38 26                         ; indirect_matmul.py:38:26
	v_perm_b32 v84, v40, v36, 0x7060302
	v_perm_b32 v90, v47, v43, 0x7060302
	;; [unrolled: 1-line block ×24, first 2 shown]
	s_waitcnt lgkmcnt(2)
	v_perm_b32 v164, v202, v198, 0x7060302
	v_perm_b32 v162, v201, v197, 0x7060302
	;; [unrolled: 1-line block ×8, first 2 shown]
	.loc	1 38 21                         ; indirect_matmul.py:38:21
	s_waitcnt lgkmcnt(0)
	s_barrier
	buffer_gl0_inv
	ds_store_b128 v17, v[49:52]
	s_waitcnt lgkmcnt(0)
	s_barrier
	buffer_gl0_inv
	ds_load_b128 v[211:214], v255
	ds_load_b128 v[215:218], v255 offset:128
	ds_load_b128 v[219:222], v255 offset:2048
	;; [unrolled: 1-line block ×3, first 2 shown]
	v_perm_b32 v52, v165, v169, 0x5040100
	v_perm_b32 v51, v113, v112, 0x5040100
	v_perm_b32 v50, v109, v111, 0x5040100
	v_perm_b32 v49, v110, v92, 0x5040100
	.loc	1 38 26                         ; indirect_matmul.py:38:26
	v_perm_b32 v92, v48, v44, 0x7060302
	v_perm_b32 v112, v118, v94, 0x7060302
	;; [unrolled: 1-line block ×31, first 2 shown]
	s_waitcnt lgkmcnt(2)
	v_perm_b32 v194, v218, v214, 0x7060302
	v_perm_b32 v192, v217, v213, 0x7060302
	;; [unrolled: 1-line block ×4, first 2 shown]
	s_waitcnt lgkmcnt(0)
	v_perm_b32 v200, v225, v221, 0x7060302
	v_perm_b32 v198, v224, v220, 0x7060302
	v_perm_b32 v196, v223, v219, 0x7060302
	v_perm_b32 v199, v225, v221, 0x5040100
	v_perm_b32 v197, v224, v220, 0x5040100
	v_perm_b32 v195, v223, v219, 0x5040100
	v_perm_b32 v202, v226, v222, 0x7060302
	v_perm_b32 v201, v226, v222, 0x5040100
	v_perm_b32 v190, v216, v212, 0x7060302
	v_perm_b32 v188, v215, v211, 0x7060302
	v_perm_b32 v189, v216, v212, 0x5040100
	v_perm_b32 v187, v215, v211, 0x5040100
	.loc	1 38 21                         ; indirect_matmul.py:38:21
	s_barrier
	buffer_gl0_inv
	ds_store_b128 v17, v[49:52]
	s_waitcnt lgkmcnt(0)
	s_barrier
	buffer_gl0_inv
	ds_load_b128 v[227:230], v255
	ds_load_b128 v[231:234], v255 offset:128
	ds_load_b128 v[49:52], v255 offset:2048
	;; [unrolled: 1-line block ×3, first 2 shown]
	.loc	1 38 26                         ; indirect_matmul.py:38:26
	s_waitcnt lgkmcnt(2)
	v_perm_b32 v210, v234, v230, 0x7060302
	v_perm_b32 v208, v233, v229, 0x7060302
	;; [unrolled: 1-line block ×8, first 2 shown]
	s_waitcnt lgkmcnt(0)
	v_perm_b32 v218, v56, v52, 0x7060302
	v_perm_b32 v217, v56, v52, 0x5040100
	;; [unrolled: 1-line block ×8, first 2 shown]
	.loc	1 35 20 is_stmt 1               ; indirect_matmul.py:35:20
	s_barrier
	buffer_gl0_inv
	ds_store_b16 v178, v97
	ds_store_b16 v178, v98 offset:512
	ds_store_b16 v178, v99 offset:1024
	;; [unrolled: 1-line block ×31, first 2 shown]
	s_waitcnt lgkmcnt(0)
	s_barrier
	buffer_gl0_inv
	ds_load_u16 v56, v173
	ds_load_u16 v57, v173 offset:256
	ds_load_u16 v58, v173 offset:512
	;; [unrolled: 1-line block ×42, first 2 shown]
	s_waitcnt lgkmcnt(34)
	ds_load_u16_d16_hi v60, v173 offset:1152
	s_waitcnt lgkmcnt(34)
	ds_load_u16_d16_hi v61, v173 offset:1408
	;; [unrolled: 2-line block ×3, first 2 shown]
	ds_load_u16 v64, v173 offset:64
	ds_load_u16_d16_hi v57, v173 offset:384
	ds_load_u16_d16_hi v56, v173 offset:128
	;; [unrolled: 1-line block ×8, first 2 shown]
	s_waitcnt lgkmcnt(37)
	ds_load_u16_d16_hi v93, v173 offset:2176
	s_waitcnt lgkmcnt(34)
	ds_load_u16_d16_hi v71, v173 offset:1984
	ds_load_u16_d16_hi v70, v173 offset:1728
	s_waitcnt lgkmcnt(11)
	ds_load_u16_d16_hi v64, v173 offset:192
	ds_load_u16_d16_hi v65, v173 offset:448
	.loc	1 38 26                         ; indirect_matmul.py:38:26
	s_waitcnt lgkmcnt(7)
	v_wmma_f32_16x16x16_bf16 v[1:8], v[56:63], v[77:84], v[1:8]
	v_wmma_f32_16x16x16_bf16 v[243:250], v[56:63], v[85:92], v[243:250]
	.loc	1 35 20                         ; indirect_matmul.py:35:20
	ds_load_u16 v56, v173 offset:6208
	ds_load_u16 v226, v173 offset:5952
	;; [unrolled: 1-line block ×7, first 2 shown]
	ds_load_u16_d16_hi v68, v173 offset:1216
	.loc	1 38 26                         ; indirect_matmul.py:38:26
	s_waitcnt lgkmcnt(0)
	v_wmma_f32_16x16x16_bf16 v[25:32], v[64:71], v[77:84], v[25:32]
	v_wmma_f32_16x16x16_bf16 v[9:16], v[64:71], v[85:92], v[9:16]
	.loc	1 35 20                         ; indirect_matmul.py:35:20
	ds_load_u16 v64, v173 offset:8256
	ds_load_u16 v66, v173 offset:8768
	;; [unrolled: 1-line block ×21, first 2 shown]
	ds_load_u16_d16_hi v220, v173 offset:4544
	ds_load_u16 v79, v173 offset:3904
	ds_load_u16_d16_hi v94, v173 offset:2432
	ds_load_u16_d16_hi v95, v173 offset:2688
	;; [unrolled: 1-line block ×6, first 2 shown]
	s_waitcnt lgkmcnt(6)
	ds_load_u16_d16_hi v79, v173 offset:4032
	ds_load_u16_d16_hi v101, v173 offset:4224
	ds_load_u16 v98, v173 offset:3328
	ds_load_u16_d16_hi v99, v173 offset:3712
	ds_load_u16_d16_hi v100, v173 offset:3968
	;; [unrolled: 1-line block ×4, first 2 shown]
	s_waitcnt lgkmcnt(4)
	ds_load_u16_d16_hi v98, v173 offset:3456
	ds_load_u16_d16_hi v76, v173 offset:3264
	;; [unrolled: 1-line block ×4, first 2 shown]
	ds_load_u16 v83, v173 offset:8960
	.loc	1 38 26                         ; indirect_matmul.py:38:26
	s_waitcnt lgkmcnt(4)
	v_wmma_f32_16x16x16_bf16 v[1:8], v[93:100], v[109:116], v[1:8]
	v_wmma_f32_16x16x16_bf16 v[243:250], v[93:100], v[117:124], v[243:250]
	.loc	1 35 20                         ; indirect_matmul.py:35:20
	ds_load_u16 v235, v173 offset:10304
	ds_load_u16 v236, v173 offset:10560
	;; [unrolled: 1-line block ×13, first 2 shown]
	.loc	1 38 26                         ; indirect_matmul.py:38:26
	s_waitcnt lgkmcnt(14)
	v_wmma_f32_16x16x16_bf16 v[25:32], v[72:79], v[109:116], v[25:32]
	v_wmma_f32_16x16x16_bf16 v[9:16], v[72:79], v[117:124], v[9:16]
	.loc	1 35 20                         ; indirect_matmul.py:35:20
	ds_load_u16 v72, v173 offset:12352
	ds_load_u16 v242, v173 offset:12096
	;; [unrolled: 1-line block ×13, first 2 shown]
	ds_load_u16_d16_hi v103, v173 offset:4736
	ds_load_u16_d16_hi v102, v173 offset:4480
	ds_load_u16_d16_hi v106, v173 offset:5504
	ds_load_u16_d16_hi v107, v173 offset:5760
	ds_load_u16_d16_hi v108, v173 offset:6016
	ds_load_u16_d16_hi v105, v173 offset:5248
	ds_load_u16_d16_hi v104, v173 offset:4992
	ds_load_u16 v110, v173 offset:12544
	ds_load_u16 v111, v173 offset:12800
	;; [unrolled: 1-line block ×3, first 2 shown]
	s_waitcnt lgkmcnt(10)
	ds_load_u16_d16_hi v222, v173 offset:5056
	ds_load_u16_d16_hi v225, v173 offset:5824
	;; [unrolled: 1-line block ×6, first 2 shown]
	.loc	1 38 26                         ; indirect_matmul.py:38:26
	s_waitcnt lgkmcnt(9)
	v_wmma_f32_16x16x16_bf16 v[1:8], v[101:108], v[33:40], v[1:8]
	v_wmma_f32_16x16x16_bf16 v[243:250], v[101:108], v[41:48], v[243:250]
	.loc	1 35 20                         ; indirect_matmul.py:35:20
	ds_load_u16 v117, v173 offset:14400
	ds_load_u16 v119, v173 offset:14912
	;; [unrolled: 1-line block ×18, first 2 shown]
	ds_load_u16_d16_hi v61, v173 offset:7616
	ds_load_u16 v59, v173 offset:6976
	ds_load_u16 v58, v173 offset:6720
	ds_load_u16_d16_hi v236, v173 offset:10688
	ds_load_u16 v71, v173 offset:10048
	ds_load_u16_d16_hi v77, v173 offset:13760
	ds_load_u16 v75, v173 offset:13120
	ds_load_u16 v74, v173 offset:12864
	ds_load_u16_d16_hi v231, v173 offset:7296
	ds_load_u16_d16_hi v233, v173 offset:7808
	;; [unrolled: 1-line block ×27, first 2 shown]
	s_waitcnt lgkmcnt(49)
	ds_load_u16_d16_hi v96, v173 offset:14464
	s_waitcnt lgkmcnt(46)
	ds_load_u16_d16_hi v79, v173 offset:14272
	ds_load_u16_d16_hi v78, v173 offset:14016
	;; [unrolled: 1-line block ×4, first 2 shown]
	s_waitcnt lgkmcnt(43)
	ds_load_u16_d16_hi v124, v173 offset:16320
	ds_load_u16_d16_hi v100, v173 offset:15488
	;; [unrolled: 1-line block ×11, first 2 shown]
	s_waitcnt lgkmcnt(53)
	ds_load_u16_d16_hi v123, v173 offset:16064
	s_waitcnt lgkmcnt(47)
	ds_load_u16_d16_hi v71, v173 offset:10176
	ds_load_u16_d16_hi v88, v173 offset:10368
	ds_load_u16 v85, v173 offset:9472
	ds_load_u16_d16_hi v59, v173 offset:7104
	ds_load_u16_d16_hi v227, v173 offset:6272
	;; [unrolled: 1-line block ×17, first 2 shown]
	s_waitcnt lgkmcnt(62)
	ds_load_u16_d16_hi v75, v173 offset:13248
	ds_load_u16_d16_hi v109, v173 offset:12416
	s_waitcnt lgkmcnt(19)
	ds_load_u16_d16_hi v85, v173 offset:9600
	ds_load_u16_d16_hi v68, v173 offset:9408
	;; [unrolled: 1-line block ×13, first 2 shown]
	.loc	1 38 26                         ; indirect_matmul.py:38:26
	s_waitcnt lgkmcnt(24)
	v_wmma_f32_16x16x16_bf16 v[1:8], v[227:234], v[125:132], v[1:8]
	v_wmma_f32_16x16x16_bf16 v[25:32], v[219:226], v[33:40], v[25:32]
	;; [unrolled: 1-line block ×4, first 2 shown]
	s_waitcnt lgkmcnt(12)
	v_wmma_f32_16x16x16_bf16 v[1:8], v[80:87], v[141:148], v[1:8]
	v_wmma_f32_16x16x16_bf16 v[25:32], v[56:63], v[125:132], v[25:32]
	;; [unrolled: 1-line block ×4, first 2 shown]
	s_delay_alu instid0(VALU_DEP_4)
	v_wmma_f32_16x16x16_bf16 v[1:8], v[88:95], v[157:164], v[1:8]
	s_waitcnt lgkmcnt(9)
	v_wmma_f32_16x16x16_bf16 v[25:32], v[64:71], v[141:148], v[25:32]
	v_wmma_f32_16x16x16_bf16 v[9:16], v[64:71], v[149:156], v[9:16]
	;; [unrolled: 1-line block ×3, first 2 shown]
	s_waitcnt lgkmcnt(3)
	v_wmma_f32_16x16x16_bf16 v[1:8], v[109:116], v[187:194], v[1:8]
	v_wmma_f32_16x16x16_bf16 v[25:32], v[235:242], v[157:164], v[25:32]
	;; [unrolled: 1-line block ×4, first 2 shown]
	s_delay_alu instid0(VALU_DEP_4)
	v_wmma_f32_16x16x16_bf16 v[1:8], v[96:103], v[203:210], v[1:8]
	s_waitcnt lgkmcnt(1)
	v_wmma_f32_16x16x16_bf16 v[25:32], v[72:79], v[187:194], v[25:32]
	v_wmma_f32_16x16x16_bf16 v[9:16], v[72:79], v[195:202], v[9:16]
	;; [unrolled: 1-line block ×3, first 2 shown]
	s_waitcnt lgkmcnt(0)
	s_delay_alu instid0(VALU_DEP_3) | instskip(NEXT) | instid1(VALU_DEP_3)
	v_wmma_f32_16x16x16_bf16 v[25:32], v[117:124], v[203:210], v[25:32]
	v_wmma_f32_16x16x16_bf16 v[9:16], v[117:124], v[211:218], v[9:16]
	.loc	1 32 25                         ; indirect_matmul.py:32:25
	s_cbranch_scc1 .LBB0_2
; %bb.3:                                ; %Flow
	.loc	1 0 25 is_stmt 0                ; indirect_matmul.py:0:25
	s_clause 0x2                            ; 12-byte Folded Reload
	scratch_load_b32 v0, off, off offset:48
	scratch_load_b32 v19, off, off offset:52
	;; [unrolled: 1-line block ×3, first 2 shown]
	s_branch .LBB0_5
.LBB0_4:
	v_mov_b32_e32 v16, 0
	s_delay_alu instid0(VALU_DEP_1)
	v_mov_b32_e32 v15, v16
	v_mov_b32_e32 v14, v16
	;; [unrolled: 1-line block ×31, first 2 shown]
.LBB0_5:                                ; %Flow453
	s_load_b32 s0, s[0:1], 0x8
	.loc	1 26 35 is_stmt 1               ; indirect_matmul.py:26:35
	s_waitcnt vmcnt(2)
	v_lshrrev_b32_e32 v18, 4, v0
	s_waitcnt vmcnt(0)
	v_lshrrev_b32_e32 v17, 1, v17
	s_delay_alu instid0(VALU_DEP_1) | instskip(SKIP_1) | instid1(VALU_DEP_2)
	v_and_or_b32 v41, v18, 1, v17
	.loc	1 42 28                         ; indirect_matmul.py:42:28
	v_lshrrev_b32_e32 v17, 2, v19
	.loc	1 26 35                         ; indirect_matmul.py:26:35
	v_or_b32_e32 v19, 2, v41
	s_delay_alu instid0(VALU_DEP_2)
	.loc	1 42 28                         ; indirect_matmul.py:42:28
	v_and_or_b32 v17, v0, 15, v17
	.loc	1 26 35                         ; indirect_matmul.py:26:35
	v_or_b32_e32 v21, 4, v41
	v_or_b32_e32 v23, 6, v41
	;; [unrolled: 1-line block ×4, first 2 shown]
	.loc	1 42 21                         ; indirect_matmul.py:42:21
	v_lshlrev_b32_e32 v17, 2, v17
	.loc	1 26 35                         ; indirect_matmul.py:26:35
	v_or_b32_e32 v20, 40, v41
	.loc	1 42 48                         ; indirect_matmul.py:42:48
	s_waitcnt lgkmcnt(0)
	v_mul_lo_u32 v19, v19, s0
	v_mul_lo_u32 v21, v21, s0
	.loc	1 26 35                         ; indirect_matmul.py:26:35
	v_or_b32_e32 v35, 10, v41
	.loc	1 42 21                         ; indirect_matmul.py:42:21
	v_add_co_u32 v57, s1, s2, v17
	.loc	1 42 48 is_stmt 0               ; indirect_matmul.py:42:48
	v_mul_lo_u32 v17, v41, s0
	v_mul_lo_u32 v23, v23, s0
	.loc	1 26 35 is_stmt 1               ; indirect_matmul.py:26:35
	v_or_b32_e32 v22, 46, v41
	v_or_b32_e32 v37, 12, v41
	.loc	1 42 48                         ; indirect_matmul.py:42:48
	v_mul_lo_u32 v33, v33, s0
	v_mul_lo_u32 v45, v18, s0
	.loc	1 26 35                         ; indirect_matmul.py:26:35
	v_or_b32_e32 v24, 44, v41
	v_or_b32_e32 v39, 14, v41
	.loc	1 42 39                         ; indirect_matmul.py:42:39
	v_ashrrev_i32_e32 v18, 31, v17
	.loc	1 42 48 is_stmt 0               ; indirect_matmul.py:42:48
	v_mul_lo_u32 v35, v35, s0
	v_mul_lo_u32 v49, v20, s0
	.loc	1 42 39                         ; indirect_matmul.py:42:39
	v_ashrrev_i32_e32 v20, 31, v19
	.loc	1 26 35 is_stmt 1               ; indirect_matmul.py:26:35
	v_or_b32_e32 v34, 42, v41
	v_or_b32_e32 v40, 32, v41
	.loc	1 42 48                         ; indirect_matmul.py:42:48
	v_mul_lo_u32 v37, v37, s0
	v_mul_lo_u32 v55, v22, s0
	.loc	1 42 39 is_stmt 0               ; indirect_matmul.py:42:39
	v_ashrrev_i32_e32 v22, 31, v21
	.loc	1 26 35 is_stmt 1               ; indirect_matmul.py:26:35
	v_or_b32_e32 v36, 38, v41
	v_or_b32_e32 v38, 34, v41
	.loc	1 42 39                         ; indirect_matmul.py:42:39
	v_lshlrev_b64 v[17:18], 2, v[17:18]
	.loc	1 42 48 is_stmt 0               ; indirect_matmul.py:42:48
	v_mul_lo_u32 v39, v39, s0
	v_mul_lo_u32 v53, v24, s0
	.loc	1 42 39                         ; indirect_matmul.py:42:39
	v_ashrrev_i32_e32 v24, 31, v23
	v_lshlrev_b64 v[19:20], 2, v[19:20]
	.loc	1 42 21                         ; indirect_matmul.py:42:21
	v_add_co_ci_u32_e64 v58, null, s3, 0, s1
	.loc	1 42 48                         ; indirect_matmul.py:42:48
	v_mul_lo_u32 v41, v40, s0
	v_mul_lo_u32 v51, v34, s0
	.loc	1 42 39                         ; indirect_matmul.py:42:39
	v_ashrrev_i32_e32 v34, 31, v33
	v_lshlrev_b64 v[21:22], 2, v[21:22]
	.loc	1 42 48                         ; indirect_matmul.py:42:48
	v_mul_lo_u32 v43, v38, s0
	v_mul_lo_u32 v47, v36, s0
	.loc	1 42 39                         ; indirect_matmul.py:42:39
	v_ashrrev_i32_e32 v36, 31, v35
	v_add_co_u32 v17, vcc_lo, v57, v17
	v_lshlrev_b64 v[23:24], 2, v[23:24]
	v_ashrrev_i32_e32 v38, 31, v37
	v_add_co_ci_u32_e64 v18, null, v58, v18, vcc_lo
	v_add_co_u32 v19, vcc_lo, v57, v19
	v_lshlrev_b64 v[33:34], 2, v[33:34]
	v_ashrrev_i32_e32 v40, 31, v39
	v_add_co_ci_u32_e64 v20, null, v58, v20, vcc_lo
	;; [unrolled: 4-line block ×10, first 2 shown]
	v_add_co_u32 v45, vcc_lo, v57, v45
	v_lshlrev_b64 v[51:52], 2, v[51:52]
	v_add_co_ci_u32_e64 v46, null, v58, v46, vcc_lo
	v_add_co_u32 v47, vcc_lo, v57, v47
	v_lshlrev_b64 v[53:54], 2, v[53:54]
	v_add_co_ci_u32_e64 v48, null, v58, v48, vcc_lo
	;; [unrolled: 3-line block ×3, first 2 shown]
	v_add_co_u32 v51, vcc_lo, v57, v51
	s_delay_alu instid0(VALU_DEP_1) | instskip(SKIP_1) | instid1(VALU_DEP_1)
	v_add_co_ci_u32_e64 v52, null, v58, v52, vcc_lo
	v_add_co_u32 v53, vcc_lo, v57, v53
	v_add_co_ci_u32_e64 v54, null, v58, v54, vcc_lo
	v_add_co_u32 v55, vcc_lo, v57, v55
	s_delay_alu instid0(VALU_DEP_1)
	v_add_co_ci_u32_e64 v56, null, v58, v56, vcc_lo
	.loc	1 43 23 is_stmt 1               ; indirect_matmul.py:43:23
	s_clause 0x1f
	global_store_b32 v[17:18], v1, off
	global_store_b32 v[19:20], v2, off
	;; [unrolled: 1-line block ×16, first 2 shown]
	global_store_b32 v[17:18], v243, off offset:256
	global_store_b32 v[19:20], v244, off offset:256
	;; [unrolled: 1-line block ×16, first 2 shown]
	.loc	1 43 4 is_stmt 0                ; indirect_matmul.py:43:4
	s_nop 0
	s_sendmsg sendmsg(MSG_DEALLOC_VGPRS)
	s_endpgm
.Ltmp1:
	.section	.rodata,"a",@progbits
	.p2align	6, 0x0
	.amdhsa_kernel indirect_matmul_kernel
		.amdhsa_group_segment_fixed_size 0
		.amdhsa_private_segment_fixed_size 64
		.amdhsa_kernarg_size 80
		.amdhsa_user_sgpr_count 15
		.amdhsa_user_sgpr_dispatch_ptr 0
		.amdhsa_user_sgpr_queue_ptr 0
		.amdhsa_user_sgpr_kernarg_segment_ptr 1
		.amdhsa_user_sgpr_dispatch_id 0
		.amdhsa_user_sgpr_private_segment_size 0
		.amdhsa_wavefront_size32 1
		.amdhsa_uses_dynamic_stack 0
		.amdhsa_enable_private_segment 1
		.amdhsa_system_sgpr_workgroup_id_x 1
		.amdhsa_system_sgpr_workgroup_id_y 0
		.amdhsa_system_sgpr_workgroup_id_z 0
		.amdhsa_system_sgpr_workgroup_info 0
		.amdhsa_system_vgpr_workitem_id 0
		.amdhsa_next_free_vgpr 256
		.amdhsa_next_free_sgpr 14
		.amdhsa_reserve_vcc 1
		.amdhsa_float_round_mode_32 0
		.amdhsa_float_round_mode_16_64 0
		.amdhsa_float_denorm_mode_32 3
		.amdhsa_float_denorm_mode_16_64 3
		.amdhsa_dx10_clamp 1
		.amdhsa_ieee_mode 1
		.amdhsa_fp16_overflow 0
		.amdhsa_workgroup_processor_mode 1
		.amdhsa_memory_ordered 1
		.amdhsa_forward_progress 1
		.amdhsa_shared_vgpr_count 0
		.amdhsa_inst_pref_size 63
		.amdhsa_exception_fp_ieee_invalid_op 0
		.amdhsa_exception_fp_denorm_src 0
		.amdhsa_exception_fp_ieee_div_zero 0
		.amdhsa_exception_fp_ieee_overflow 0
		.amdhsa_exception_fp_ieee_underflow 0
		.amdhsa_exception_fp_ieee_inexact 0
		.amdhsa_exception_int_div_zero 0
	.end_amdhsa_kernel
	.text
.Lfunc_end0:
	.size	indirect_matmul_kernel, .Lfunc_end0-indirect_matmul_kernel
	.cfi_endproc
                                        ; -- End function
	.set indirect_matmul_kernel.num_vgpr, 256
	.set indirect_matmul_kernel.num_agpr, 0
	.set indirect_matmul_kernel.numbered_sgpr, 14
	.set indirect_matmul_kernel.num_named_barrier, 0
	.set indirect_matmul_kernel.private_seg_size, 64
	.set indirect_matmul_kernel.uses_vcc, 1
	.set indirect_matmul_kernel.uses_flat_scratch, 1
	.set indirect_matmul_kernel.has_dyn_sized_stack, 0
	.set indirect_matmul_kernel.has_recursion, 0
	.set indirect_matmul_kernel.has_indirect_call, 0
	.section	.AMDGPU.csdata,"",@progbits
; Kernel info:
; codeLenInByte = 12360
; TotalNumSgprs: 16
; NumVgprs: 256
; ScratchSize: 64
; MemoryBound: 0
; FloatMode: 240
; IeeeMode: 1
; LDSByteSize: 0 bytes/workgroup (compile time only)
; SGPRBlocks: 0
; VGPRBlocks: 31
; NumSGPRsForWavesPerEU: 16
; NumVGPRsForWavesPerEU: 256
; Occupancy: 5
; WaveLimiterHint : 1
; COMPUTE_PGM_RSRC2:SCRATCH_EN: 1
; COMPUTE_PGM_RSRC2:USER_SGPR: 15
; COMPUTE_PGM_RSRC2:TRAP_HANDLER: 0
; COMPUTE_PGM_RSRC2:TGID_X_EN: 1
; COMPUTE_PGM_RSRC2:TGID_Y_EN: 0
; COMPUTE_PGM_RSRC2:TGID_Z_EN: 0
; COMPUTE_PGM_RSRC2:TIDIG_COMP_CNT: 0
	.text
	.p2alignl 7, 3214868480
	.fill 96, 4, 3214868480
	.section	.AMDGPU.gpr_maximums,"",@progbits
	.set amdgpu.max_num_vgpr, 0
	.set amdgpu.max_num_agpr, 0
	.set amdgpu.max_num_sgpr, 0
	.set amdgpu.max_num_named_barrier, 0
	.text
	.section	.debug_abbrev,"",@progbits
	.byte	1                               ; Abbreviation Code
	.byte	17                              ; DW_TAG_compile_unit
	.byte	0                               ; DW_CHILDREN_no
	.byte	37                              ; DW_AT_producer
	.byte	14                              ; DW_FORM_strp
	.byte	19                              ; DW_AT_language
	.byte	5                               ; DW_FORM_data2
	.byte	3                               ; DW_AT_name
	.byte	14                              ; DW_FORM_strp
	.byte	16                              ; DW_AT_stmt_list
	.byte	23                              ; DW_FORM_sec_offset
	.byte	27                              ; DW_AT_comp_dir
	.byte	14                              ; DW_FORM_strp
	.byte	17                              ; DW_AT_low_pc
	.byte	1                               ; DW_FORM_addr
	.byte	18                              ; DW_AT_high_pc
	.byte	6                               ; DW_FORM_data4
	.byte	0                               ; EOM(1)
	.byte	0                               ; EOM(2)
	;; [unrolled: 1-line block ×3, first 2 shown]
	.section	.debug_info,"",@progbits
.Lcu_begin0:
	.long	.Ldebug_info_end0-.Ldebug_info_start0 ; Length of Unit
.Ldebug_info_start0:
	.short	4                               ; DWARF version number
	.long	.debug_abbrev                   ; Offset Into Abbrev. Section
	.byte	8                               ; Address Size (in bytes)
	.byte	1                               ; Abbrev [1] 0xb:0x1f DW_TAG_compile_unit
	.long	.Linfo_string0                  ; DW_AT_producer
	.short	2                               ; DW_AT_language
	.long	.Linfo_string1                  ; DW_AT_name
	.long	.Lline_table_start0             ; DW_AT_stmt_list
	.long	.Linfo_string2                  ; DW_AT_comp_dir
	.quad	.Lfunc_begin0                   ; DW_AT_low_pc
	.long	.Lfunc_end0-.Lfunc_begin0       ; DW_AT_high_pc
.Ldebug_info_end0:
	.section	.debug_str,"MS",@progbits,1
.Linfo_string0:
	.asciz	"triton"                        ; string offset=0
.Linfo_string1:
	.asciz	"indirect_matmul.py"            ; string offset=7
.Linfo_string2:
	.asciz	"/root/src/amdgpu-assembly/repos/triton-lang__triton-aot" ; string offset=26
	.section	".note.GNU-stack","",@progbits
	.amdgpu_metadata
---
amdhsa.kernels:
  - .args:
      - .address_space:  global
        .offset:         0
        .size:           8
        .value_kind:     global_buffer
      - .offset:         8
        .size:           4
        .value_kind:     by_value
      - .address_space:  global
        .offset:         16
        .size:           8
        .value_kind:     global_buffer
      - .offset:         24
        .size:           4
        .value_kind:     by_value
      - .address_space:  global
        .offset:         32
        .size:           8
        .value_kind:     global_buffer
      - .offset:         40
        .size:           4
        .value_kind:     by_value
      - .address_space:  global
        .offset:         48
        .size:           8
        .value_kind:     global_buffer
      - .offset:         56
        .size:           4
        .value_kind:     by_value
      - .address_space:  global
        .offset:         64
        .size:           8
        .value_kind:     global_buffer
      - .address_space:  global
        .offset:         72
        .size:           8
        .value_kind:     global_buffer
    .group_segment_fixed_size: 0
    .kernarg_segment_align: 8
    .kernarg_segment_size: 80
    .max_flat_workgroup_size: 256
    .name:           indirect_matmul_kernel
    .private_segment_fixed_size: 64
    .sgpr_count:     16
    .sgpr_spill_count: 0
    .symbol:         indirect_matmul_kernel.kd
    .uniform_work_group_size: 1
    .uses_dynamic_stack: false
    .vgpr_count:     256
    .vgpr_spill_count: 15
    .wavefront_size: 32
    .workgroup_processor_mode: 1
amdhsa.target:   amdgcn-amd-amdhsa--gfx1100
amdhsa.version:
  - 1
  - 2
...

	.end_amdgpu_metadata
	.section	.debug_line,"",@progbits
.Lline_table_start0:
